;; amdgpu-corpus repo=ROCm/rocFFT kind=compiled arch=gfx1201 opt=O3
	.text
	.amdgcn_target "amdgcn-amd-amdhsa--gfx1201"
	.amdhsa_code_object_version 6
	.protected	bluestein_single_back_len144_dim1_sp_op_CI_CI ; -- Begin function bluestein_single_back_len144_dim1_sp_op_CI_CI
	.globl	bluestein_single_back_len144_dim1_sp_op_CI_CI
	.p2align	8
	.type	bluestein_single_back_len144_dim1_sp_op_CI_CI,@function
bluestein_single_back_len144_dim1_sp_op_CI_CI: ; @bluestein_single_back_len144_dim1_sp_op_CI_CI
; %bb.0:
	s_load_b128 s[16:19], s[0:1], 0x28
	v_mul_u32_u24_e32 v1, 0x1556, v0
	s_mov_b32 s2, exec_lo
	s_delay_alu instid0(VALU_DEP_1) | instskip(NEXT) | instid1(VALU_DEP_1)
	v_lshrrev_b32_e32 v1, 16, v1
	v_mad_co_u64_u32 v[56:57], null, ttmp9, 10, v[1:2]
	v_mov_b32_e32 v57, 0
	s_wait_kmcnt 0x0
	s_delay_alu instid0(VALU_DEP_1)
	v_cmpx_gt_u64_e64 s[16:17], v[56:57]
	s_cbranch_execz .LBB0_2
; %bb.1:
	s_clause 0x1
	s_load_b128 s[4:7], s[0:1], 0x18
	s_load_b128 s[8:11], s[0:1], 0x0
	v_mul_lo_u16 v1, v1, 12
	v_mul_hi_u32 v25, 0xcccccccd, v56
	s_delay_alu instid0(VALU_DEP_2) | instskip(NEXT) | instid1(VALU_DEP_2)
	v_sub_nc_u16 v16, v0, v1
	v_lshrrev_b32_e32 v25, 3, v25
	s_delay_alu instid0(VALU_DEP_2) | instskip(SKIP_1) | instid1(VALU_DEP_3)
	v_and_b32_e32 v74, 0xffff, v16
	v_mul_lo_u16 v26, v16, 6
	v_mul_lo_u32 v25, v25, 10
	s_wait_kmcnt 0x0
	s_load_b128 s[12:15], s[4:5], 0x0
	s_delay_alu instid0(VALU_DEP_1) | instskip(NEXT) | instid1(VALU_DEP_1)
	v_sub_nc_u32_e32 v25, v56, v25
	v_mul_u32_u24_e32 v69, 0x90, v25
	s_wait_kmcnt 0x0
	v_mad_co_u64_u32 v[0:1], null, s14, v56, 0
	v_mad_co_u64_u32 v[2:3], null, s12, v74, 0
	s_mul_u64 s[2:3], s[12:13], 0xc0
	s_mul_i32 s4, s13, 0x180
	s_delay_alu instid0(VALU_DEP_1) | instskip(NEXT) | instid1(VALU_DEP_1)
	v_mad_co_u64_u32 v[4:5], null, s15, v56, v[1:2]
	v_mov_b32_e32 v1, v4
	s_delay_alu instid0(VALU_DEP_3) | instskip(SKIP_2) | instid1(VALU_DEP_4)
	v_mad_co_u64_u32 v[5:6], null, s13, v74, v[3:4]
	v_lshlrev_b32_e32 v28, 3, v74
	v_or_b32_e32 v73, 0x60, v74
	v_lshlrev_b64_e32 v[0:1], 3, v[0:1]
	v_or_b32_e32 v72, 48, v74
	v_add_co_u32 v27, null, v74, 12
	v_mov_b32_e32 v3, v5
	global_load_b64 v[32:33], v28, s[8:9]
	v_add_co_u32 v13, vcc_lo, s18, v0
	v_add_co_ci_u32_e32 v14, vcc_lo, s19, v1, vcc_lo
	v_lshlrev_b64_e32 v[2:3], 3, v[2:3]
	v_mad_co_u64_u32 v[0:1], null, s12, v73, 0
	s_clause 0x3
	global_load_b64 v[34:35], v28, s[8:9] offset:384
	global_load_b64 v[36:37], v28, s[8:9] offset:768
	;; [unrolled: 1-line block ×4, first 2 shown]
	v_add_co_u32 v2, vcc_lo, v13, v2
	s_wait_alu 0xfffd
	v_add_co_ci_u32_e32 v3, vcc_lo, v14, v3, vcc_lo
	s_clause 0x1
	global_load_b64 v[44:45], v28, s[8:9] offset:192
	global_load_b64 v[42:43], v28, s[8:9] offset:96
	v_add_co_u32 v6, vcc_lo, v2, s2
	s_wait_alu 0xfffd
	v_add_co_ci_u32_e32 v7, vcc_lo, s3, v3, vcc_lo
	v_mad_co_u64_u32 v[11:12], null, s13, v73, v[1:2]
	global_load_b64 v[2:3], v[2:3], off
	v_mad_co_u64_u32 v[4:5], null, s12, v72, 0
	v_lshl_add_u32 v75, v69, 3, v28
	v_mul_u32_u24_e32 v59, 6, v27
	v_mov_b32_e32 v1, v11
	s_delay_alu instid0(VALU_DEP_4)
	v_mad_co_u64_u32 v[8:9], null, s13, v72, v[5:6]
	v_mad_co_u64_u32 v[9:10], null, 0x180, s12, v[6:7]
	global_load_b64 v[6:7], v[6:7], off
	v_and_b32_e32 v29, 0xff, v27
	v_add_lshl_u32 v77, v69, v59, 3
	v_dual_mov_b32 v5, v8 :: v_dual_add_nc_u32 v10, s4, v10
	s_delay_alu instid0(VALU_DEP_3) | instskip(NEXT) | instid1(VALU_DEP_2)
	v_mul_lo_u16 v29, 0xab, v29
	v_lshlrev_b64_e32 v[4:5], 3, v[4:5]
	s_delay_alu instid0(VALU_DEP_3) | instskip(NEXT) | instid1(VALU_DEP_3)
	v_mad_co_u64_u32 v[11:12], null, 0x180, s12, v[9:10]
	v_lshrrev_b16 v62, 10, v29
	s_delay_alu instid0(VALU_DEP_3) | instskip(SKIP_1) | instid1(VALU_DEP_4)
	v_add_co_u32 v4, vcc_lo, v13, v4
	s_wait_alu 0xfffd
	v_add_co_ci_u32_e32 v5, vcc_lo, v14, v5, vcc_lo
	s_delay_alu instid0(VALU_DEP_4)
	v_add_nc_u32_e32 v12, s4, v12
	v_lshlrev_b64_e32 v[0:1], 3, v[0:1]
	s_mul_i32 s4, s13, 0xfffffca0
	global_load_b64 v[46:47], v28, s[8:9] offset:672
	global_load_b64 v[4:5], v[4:5], off
	s_wait_alu 0xfffe
	s_sub_co_i32 s4, s4, s12
	v_and_b32_e32 v31, 0xffff, v26
	v_add_nc_u32_e32 v26, -6, v74
	v_add_co_u32 v0, vcc_lo, v13, v0
	s_wait_alu 0xfffd
	v_add_co_ci_u32_e32 v1, vcc_lo, v14, v1, vcc_lo
	v_mad_co_u64_u32 v[13:14], null, 0xfffffca0, s12, v[11:12]
	v_mul_lo_u16 v60, v62, 6
	global_load_b64 v[0:1], v[0:1], off
	s_clause 0x1
	global_load_b64 v[50:51], v28, s[8:9] offset:576
	global_load_b64 v[48:49], v28, s[8:9] offset:480
	global_load_b64 v[8:9], v[9:10], off
	v_sub_nc_u16 v27, v27, v60
	s_wait_alu 0xfffe
	v_add_nc_u32_e32 v14, s4, v14
	v_add_co_u32 v17, vcc_lo, v13, s2
	s_wait_loadcnt 0x7
	v_mul_f32_e32 v25, v3, v33
	s_wait_alu 0xfffd
	v_add_co_ci_u32_e32 v18, vcc_lo, s3, v14, vcc_lo
	s_clause 0x1
	global_load_b64 v[10:11], v[11:12], off
	global_load_b64 v[12:13], v[13:14], off
	v_add_co_u32 v14, vcc_lo, v17, s2
	s_wait_alu 0xfffd
	v_add_co_ci_u32_e32 v15, vcc_lo, s3, v18, vcc_lo
	global_load_b64 v[17:18], v[17:18], off
	v_add_co_u32 v19, vcc_lo, v14, s2
	s_wait_alu 0xfffd
	v_add_co_ci_u32_e32 v20, vcc_lo, s3, v15, vcc_lo
	;; [unrolled: 4-line block ×4, first 2 shown]
	s_clause 0x1
	global_load_b64 v[52:53], v28, s[8:9] offset:1056
	global_load_b64 v[54:55], v28, s[8:9] offset:864
	global_load_b64 v[21:22], v[21:22], off
	global_load_b64 v[23:24], v[23:24], off
	v_cmp_gt_u16_e32 vcc_lo, 6, v16
	v_mul_f32_e32 v29, v2, v33
	s_wait_loadcnt 0xf
	v_dual_fmac_f32 v25, v2, v32 :: v_dual_mul_f32 v2, v7, v45
	s_load_b128 s[4:7], s[6:7], 0x0
	v_cndmask_b32_e32 v61, v26, v74, vcc_lo
	v_or_b32_e32 v26, v69, v74
	s_add_nc_u64 s[2:3], s[8:9], 0x480
	v_fmac_f32_e32 v2, v6, v44
	s_delay_alu instid0(VALU_DEP_2)
	v_lshlrev_b32_e32 v76, 3, v26
	v_fma_f32 v26, v3, v32, -v29
	s_wait_loadcnt 0xd
	v_mul_f32_e32 v29, v5, v35
	v_dual_mul_f32 v3, v6, v45 :: v_dual_mul_f32 v30, v4, v35
	v_add_lshl_u32 v78, v69, v31, 3
	ds_store_b64 v76, v[25:26]
	v_fmac_f32_e32 v29, v4, v34
	v_fma_f32 v30, v5, v34, -v30
	s_wait_loadcnt 0xc
	v_mul_f32_e32 v58, v0, v37
	s_wait_loadcnt 0x9
	v_mul_f32_e32 v4, v9, v51
	v_mul_f32_e32 v57, v1, v37
	v_fma_f32 v3, v7, v44, -v3
	v_fma_f32 v58, v1, v36, -v58
	s_delay_alu instid0(VALU_DEP_4)
	v_fmac_f32_e32 v4, v8, v50
	s_wait_loadcnt 0x8
	v_dual_fmac_f32 v57, v0, v36 :: v_dual_mul_f32 v6, v11, v39
	v_mul_f32_e32 v1, v8, v51
	s_wait_loadcnt 0x7
	v_mul_f32_e32 v0, v13, v43
	v_mul_f32_e32 v7, v12, v43
	;; [unrolled: 1-line block ×3, first 2 shown]
	v_fmac_f32_e32 v6, v10, v38
	v_fma_f32 v5, v9, v50, -v1
	s_wait_loadcnt 0x6
	v_dual_mul_f32 v9, v17, v41 :: v_dual_fmac_f32 v0, v12, v42
	v_fma_f32 v1, v13, v42, -v7
	v_fma_f32 v7, v11, v38, -v8
	v_mul_f32_e32 v8, v18, v41
	s_delay_alu instid0(VALU_DEP_4)
	v_fma_f32 v9, v18, v40, -v9
	ds_store_2addr_b64 v75, v[0:1], v[2:3] offset0:12 offset1:24
	s_wait_loadcnt 0x5
	v_mul_f32_e32 v1, v14, v49
	v_mul_f32_e32 v0, v15, v49
	s_wait_loadcnt 0x4
	v_dual_fmac_f32 v8, v17, v40 :: v_dual_mul_f32 v3, v19, v47
	v_mul_f32_e32 v2, v20, v47
	s_wait_loadcnt 0x1
	v_mul_f32_e32 v10, v22, v55
	v_mul_f32_e32 v11, v21, v55
	s_wait_loadcnt 0x0
	v_mul_f32_e32 v13, v23, v53
	v_mul_f32_e32 v12, v24, v53
	v_fmac_f32_e32 v0, v14, v48
	v_fma_f32 v1, v15, v48, -v1
	v_fmac_f32_e32 v2, v19, v46
	v_fma_f32 v3, v20, v46, -v3
	;; [unrolled: 2-line block ×3, first 2 shown]
	v_fma_f32 v13, v24, v52, -v13
	v_mul_i32_i24_e32 v24, 40, v61
	v_fmac_f32_e32 v12, v23, v52
	ds_store_2addr_b64 v75, v[8:9], v[29:30] offset0:36 offset1:48
	ds_store_2addr_b64 v75, v[0:1], v[4:5] offset0:60 offset1:72
	;; [unrolled: 1-line block ×4, first 2 shown]
	ds_store_b64 v75, v[12:13] offset:1056
	global_wb scope:SCOPE_SE
	s_wait_dscnt 0x0
	s_wait_kmcnt 0x0
	s_barrier_signal -1
	s_barrier_wait -1
	global_inv scope:SCOPE_SE
	ds_load_b64 v[21:22], v76
	ds_load_2addr_b64 v[0:3], v75 offset0:36 offset1:48
	ds_load_2addr_b64 v[4:7], v75 offset0:84 offset1:96
	v_mul_hi_i32_i24_e32 v23, 40, v61
	ds_load_2addr_b64 v[8:11], v75 offset0:12 offset1:24
	ds_load_2addr_b64 v[12:15], v75 offset0:60 offset1:72
	;; [unrolled: 1-line block ×3, first 2 shown]
	v_add_co_u32 v25, vcc_lo, s10, v24
	v_and_b32_e32 v29, 0xff, v27
	s_wait_alu 0xfffd
	v_add_co_ci_u32_e32 v26, vcc_lo, s11, v23, vcc_lo
	ds_load_b64 v[23:24], v75 offset:1056
	global_wb scope:SCOPE_SE
	s_wait_dscnt 0x0
	s_barrier_signal -1
	s_barrier_wait -1
	global_inv scope:SCOPE_SE
	v_cmp_lt_u16_e32 vcc_lo, 5, v16
	v_add_f32_e32 v58, v22, v3
	v_dual_add_f32 v31, v2, v6 :: v_dual_add_f32 v64, v11, v15
	v_sub_f32_e32 v63, v15, v20
	v_add_f32_e32 v15, v15, v20
	v_dual_add_f32 v65, v8, v12 :: v_dual_add_f32 v30, v21, v2
	v_sub_f32_e32 v57, v3, v7
	v_dual_add_f32 v3, v3, v7 :: v_dual_sub_f32 v2, v2, v6
	v_add_f32_e32 v71, v4, v23
	v_add_f32_e32 v59, v10, v14
	v_dual_add_f32 v60, v14, v19 :: v_dual_sub_f32 v67, v13, v18
	v_dual_sub_f32 v14, v14, v19 :: v_dual_sub_f32 v79, v5, v24
	v_add_f32_e32 v66, v12, v17
	s_delay_alu instid0(VALU_DEP_4)
	v_dual_sub_f32 v70, v12, v17 :: v_dual_add_f32 v19, v59, v19
	v_add_f32_e32 v12, v0, v4
	v_fma_f32 v21, -0.5, v31, v21
	v_fma_f32 v11, -0.5, v15, v11
	v_add_f32_e32 v15, v65, v17
	v_add_f32_e32 v80, v1, v5
	;; [unrolled: 1-line block ×3, first 2 shown]
	v_dual_add_f32 v68, v9, v13 :: v_dual_add_f32 v7, v58, v7
	v_dual_add_f32 v13, v13, v18 :: v_dual_sub_f32 v4, v4, v23
	s_delay_alu instid0(VALU_DEP_3)
	v_dual_add_f32 v6, v30, v6 :: v_dual_fmac_f32 v1, -0.5, v5
	v_dual_fmac_f32 v22, -0.5, v3 :: v_dual_fmamk_f32 v31, v57, 0x3f5db3d7, v21
	v_fma_f32 v10, -0.5, v60, v10
	v_dual_add_f32 v20, v64, v20 :: v_dual_fmac_f32 v21, 0xbf5db3d7, v57
	v_fma_f32 v8, -0.5, v66, v8
	v_add_f32_e32 v23, v12, v23
	v_fma_f32 v0, -0.5, v71, v0
	v_dual_add_f32 v24, v80, v24 :: v_dual_fmamk_f32 v57, v14, 0xbf5db3d7, v11
	v_dual_add_f32 v30, v68, v18 :: v_dual_fmamk_f32 v5, v63, 0x3f5db3d7, v10
	v_dual_fmac_f32 v9, -0.5, v13 :: v_dual_fmamk_f32 v58, v2, 0xbf5db3d7, v22
	v_dual_add_f32 v3, v7, v20 :: v_dual_fmac_f32 v22, 0x3f5db3d7, v2
	v_dual_sub_f32 v13, v7, v20 :: v_dual_fmac_f32 v10, 0xbf5db3d7, v63
	s_delay_alu instid0(VALU_DEP_3)
	v_fmamk_f32 v7, v70, 0xbf5db3d7, v9
	v_dual_fmac_f32 v11, 0x3f5db3d7, v14 :: v_dual_add_f32 v2, v6, v19
	v_dual_sub_f32 v12, v6, v19 :: v_dual_fmac_f32 v9, 0x3f5db3d7, v70
	v_fmamk_f32 v6, v67, 0x3f5db3d7, v8
	v_dual_fmac_f32 v8, 0xbf5db3d7, v67 :: v_dual_fmamk_f32 v19, v4, 0xbf5db3d7, v1
	v_fmamk_f32 v14, v79, 0x3f5db3d7, v0
	v_dual_add_f32 v17, v15, v23 :: v_dual_add_f32 v18, v30, v24
	v_dual_sub_f32 v23, v15, v23 :: v_dual_sub_f32 v24, v30, v24
	v_mul_f32_e32 v15, 0x3f5db3d7, v57
	s_delay_alu instid0(VALU_DEP_4)
	v_dual_fmac_f32 v0, 0xbf5db3d7, v79 :: v_dual_mul_f32 v65, 0xbf5db3d7, v14
	v_dual_fmac_f32 v1, 0x3f5db3d7, v4 :: v_dual_mul_f32 v20, -0.5, v10
	v_mul_f32_e32 v63, 0x3f5db3d7, v19
	v_mul_f32_e32 v30, 0xbf5db3d7, v5
	v_dual_mul_f32 v60, -0.5, v11 :: v_dual_fmac_f32 v15, 0.5, v5
	v_dual_mul_f32 v64, -0.5, v0 :: v_dual_fmac_f32 v65, 0.5, v19
	s_delay_alu instid0(VALU_DEP_3) | instskip(NEXT) | instid1(VALU_DEP_3)
	v_dual_fmac_f32 v63, 0.5, v14 :: v_dual_fmac_f32 v30, 0.5, v57
	v_dual_sub_f32 v57, v31, v15 :: v_dual_mul_f32 v66, -0.5, v1
	s_delay_alu instid0(VALU_DEP_4) | instskip(SKIP_1) | instid1(VALU_DEP_4)
	v_fmac_f32_e32 v60, 0xbf5db3d7, v10
	v_fmac_f32_e32 v20, 0x3f5db3d7, v11
	v_dual_fmac_f32 v64, 0x3f5db3d7, v1 :: v_dual_add_f32 v19, v6, v63
	s_delay_alu instid0(VALU_DEP_4) | instskip(NEXT) | instid1(VALU_DEP_4)
	v_dual_add_f32 v5, v58, v30 :: v_dual_fmac_f32 v66, 0xbf5db3d7, v0
	v_dual_add_f32 v4, v31, v15 :: v_dual_add_f32 v11, v22, v60
	s_delay_alu instid0(VALU_DEP_4)
	v_add_f32_e32 v10, v21, v20
	v_dual_sub_f32 v59, v21, v20 :: v_dual_sub_f32 v58, v58, v30
	v_add_f32_e32 v20, v7, v65
	v_dual_sub_f32 v7, v7, v65 :: v_dual_sub_f32 v60, v22, v60
	v_dual_add_f32 v21, v8, v64 :: v_dual_add_f32 v22, v9, v66
	v_sub_f32_e32 v6, v6, v63
	v_dual_sub_f32 v8, v8, v64 :: v_dual_sub_f32 v9, v9, v66
	ds_store_b128 v78, v[2:5]
	ds_store_b128 v78, v[10:13] offset:16
	ds_store_b128 v78, v[57:60] offset:32
	ds_store_b128 v77, v[17:20]
	ds_store_b128 v77, v[21:24] offset:16
	ds_store_b128 v77, v[6:9] offset:32
	v_mad_co_u64_u32 v[17:18], null, v29, 40, s[10:11]
	global_wb scope:SCOPE_SE
	s_wait_dscnt 0x0
	s_barrier_signal -1
	s_barrier_wait -1
	global_inv scope:SCOPE_SE
	s_clause 0x5
	global_load_b128 v[12:15], v[25:26], off
	global_load_b128 v[8:11], v[25:26], off offset:16
	global_load_b64 v[59:60], v[25:26], off offset:32
	global_load_b128 v[4:7], v[17:18], off
	global_load_b128 v[0:3], v[17:18], off offset:16
	global_load_b64 v[57:58], v[17:18], off offset:32
	ds_load_2addr_b64 v[16:19], v75 offset0:12 offset1:24
	v_mad_u16 v30, v62, 36, v27
	ds_load_2addr_b64 v[20:23], v75 offset0:36 offset1:48
	ds_load_2addr_b64 v[24:27], v75 offset0:60 offset1:72
	;; [unrolled: 1-line block ×3, first 2 shown]
	s_wait_alu 0xfffd
	v_cndmask_b32_e64 v29, 0, 36, vcc_lo
	v_and_b32_e32 v70, 0xff, v30
	s_delay_alu instid0(VALU_DEP_2)
	v_add_nc_u32_e32 v31, v61, v29
	ds_load_2addr_b64 v[61:64], v75 offset0:84 offset1:96
	v_mad_co_u64_u32 v[29:30], null, v74, 24, s[10:11]
	v_add_lshl_u32 v80, v69, v31, 3
	s_wait_loadcnt_dscnt 0x402
	v_mul_f32_e32 v85, v27, v9
	s_wait_loadcnt_dscnt 0x301
	v_mul_f32_e32 v89, v68, v60
	v_add_lshl_u32 v79, v69, v70, 3
	ds_load_b64 v[69:70], v76
	ds_load_b64 v[81:82], v75 offset:1056
	v_mul_f32_e32 v31, v19, v13
	v_mul_f32_e32 v71, v18, v13
	v_mul_f32_e32 v83, v23, v15
	s_wait_loadcnt 0x2
	v_dual_mul_f32 v84, v22, v15 :: v_dual_mul_f32 v91, v21, v5
	v_dual_mul_f32 v86, v26, v9 :: v_dual_mul_f32 v93, v25, v7
	s_wait_dscnt 0x2
	v_dual_mul_f32 v87, v64, v11 :: v_dual_mul_f32 v90, v67, v60
	s_wait_loadcnt 0x1
	v_mul_f32_e32 v97, v66, v3
	v_dual_mul_f32 v94, v24, v7 :: v_dual_fmac_f32 v71, v19, v12
	v_dual_mul_f32 v88, v63, v11 :: v_dual_mul_f32 v95, v62, v1
	v_mul_f32_e32 v92, v20, v5
	v_fma_f32 v31, v18, v12, -v31
	v_fma_f32 v18, v22, v14, -v83
	;; [unrolled: 1-line block ×4, first 2 shown]
	s_wait_loadcnt_dscnt 0x0
	v_dual_mul_f32 v99, v82, v58 :: v_dual_mul_f32 v96, v61, v1
	v_fma_f32 v26, v20, v4, -v91
	v_fma_f32 v20, v24, v6, -v93
	;; [unrolled: 1-line block ×3, first 2 shown]
	v_fmac_f32_e32 v94, v25, v6
	v_mul_f32_e32 v100, v81, v58
	v_fmac_f32_e32 v84, v23, v14
	v_dual_fmac_f32 v86, v27, v8 :: v_dual_add_f32 v27, v69, v18
	v_fma_f32 v23, v67, v59, -v89
	v_fmac_f32_e32 v88, v64, v10
	v_fma_f32 v25, v81, v57, -v99
	v_dual_add_f32 v83, v20, v24 :: v_dual_mul_f32 v98, v65, v3
	v_add_f32_e32 v63, v70, v84
	v_sub_f32_e32 v87, v20, v24
	v_dual_fmac_f32 v90, v68, v59 :: v_dual_add_f32 v85, v17, v94
	v_fmac_f32_e32 v92, v21, v4
	v_fma_f32 v21, v61, v0, -v95
	v_add_f32_e32 v61, v18, v22
	s_delay_alu instid0(VALU_DEP_4) | instskip(SKIP_1) | instid1(VALU_DEP_4)
	v_sub_f32_e32 v67, v86, v90
	v_dual_fmac_f32 v96, v62, v0 :: v_dual_add_f32 v65, v31, v19
	v_add_f32_e32 v89, v21, v25
	v_fmac_f32_e32 v100, v82, v57
	v_add_f32_e32 v68, v71, v86
	v_add_f32_e32 v81, v86, v90
	v_dual_add_f32 v93, v92, v96 :: v_dual_fmac_f32 v98, v66, v2
	s_delay_alu instid0(VALU_DEP_4)
	v_dual_sub_f32 v91, v96, v100 :: v_dual_add_f32 v66, v19, v23
	v_dual_sub_f32 v19, v19, v23 :: v_dual_sub_f32 v62, v84, v88
	v_dual_add_f32 v64, v84, v88 :: v_dual_sub_f32 v95, v21, v25
	v_add_f32_e32 v82, v16, v20
	v_add_f32_e32 v86, v94, v98
	v_dual_add_f32 v20, v26, v21 :: v_dual_add_f32 v21, v27, v22
	v_fmac_f32_e32 v71, -0.5, v81
	v_add_f32_e32 v27, v68, v90
	v_fmac_f32_e32 v31, -0.5, v66
	s_delay_alu instid0(VALU_DEP_4) | instskip(SKIP_4) | instid1(VALU_DEP_4)
	v_dual_sub_f32 v84, v94, v98 :: v_dual_add_f32 v25, v20, v25
	v_add_f32_e32 v94, v96, v100
	v_dual_sub_f32 v18, v18, v22 :: v_dual_add_f32 v23, v65, v23
	v_fma_f32 v69, -0.5, v61, v69
	v_add_f32_e32 v61, v85, v98
	v_fmac_f32_e32 v92, -0.5, v94
	v_add_f32_e32 v22, v63, v88
	v_fmac_f32_e32 v70, -0.5, v64
	v_add_f32_e32 v24, v82, v24
	v_fma_f32 v16, -0.5, v83, v16
	v_dual_fmac_f32 v26, -0.5, v89 :: v_dual_fmamk_f32 v65, v19, 0xbf5db3d7, v71
	v_add_f32_e32 v63, v93, v100
	v_fmac_f32_e32 v17, -0.5, v86
	s_delay_alu instid0(VALU_DEP_4)
	v_dual_fmamk_f32 v64, v62, 0x3f5db3d7, v69 :: v_dual_fmamk_f32 v81, v84, 0x3f5db3d7, v16
	v_fmac_f32_e32 v69, 0xbf5db3d7, v62
	v_fmamk_f32 v62, v67, 0x3f5db3d7, v31
	v_fmac_f32_e32 v31, 0xbf5db3d7, v67
	v_fmac_f32_e32 v71, 0x3f5db3d7, v19
	v_dual_sub_f32 v20, v21, v23 :: v_dual_fmamk_f32 v67, v95, 0xbf5db3d7, v92
	v_fmamk_f32 v66, v18, 0xbf5db3d7, v70
	v_dual_fmac_f32 v70, 0x3f5db3d7, v18 :: v_dual_add_f32 v19, v22, v27
	v_add_f32_e32 v18, v21, v23
	v_sub_f32_e32 v21, v22, v27
	v_fmamk_f32 v27, v91, 0x3f5db3d7, v26
	v_fmac_f32_e32 v16, 0xbf5db3d7, v84
	v_dual_fmamk_f32 v82, v87, 0xbf5db3d7, v17 :: v_dual_mul_f32 v83, 0xbf5db3d7, v62
	v_dual_fmac_f32 v17, 0x3f5db3d7, v87 :: v_dual_add_f32 v22, v24, v25
	v_fmac_f32_e32 v92, 0x3f5db3d7, v95
	v_dual_add_f32 v23, v61, v63 :: v_dual_sub_f32 v24, v24, v25
	v_mul_f32_e32 v85, 0x3f5db3d7, v67
	v_sub_f32_e32 v25, v61, v63
	v_mul_f32_e32 v63, 0x3f5db3d7, v65
	v_fmac_f32_e32 v26, 0xbf5db3d7, v91
	v_dual_mul_f32 v68, -0.5, v31 :: v_dual_fmac_f32 v83, 0.5, v65
	v_dual_mul_f32 v87, 0xbf5db3d7, v27 :: v_dual_mul_f32 v88, -0.5, v92
	v_fmac_f32_e32 v85, 0.5, v27
	v_fmac_f32_e32 v63, 0.5, v62
	v_mul_f32_e32 v86, -0.5, v26
	v_fmac_f32_e32 v68, 0x3f5db3d7, v71
	v_fmac_f32_e32 v87, 0.5, v67
	v_dual_add_f32 v67, v81, v85 :: v_dual_mul_f32 v84, -0.5, v71
	s_delay_alu instid0(VALU_DEP_4) | instskip(NEXT) | instid1(VALU_DEP_4)
	v_fmac_f32_e32 v86, 0x3f5db3d7, v92
	v_dual_add_f32 v61, v69, v68 :: v_dual_fmac_f32 v88, 0xbf5db3d7, v26
	v_add_f32_e32 v27, v66, v83
	s_delay_alu instid0(VALU_DEP_4) | instskip(SKIP_1) | instid1(VALU_DEP_2)
	v_dual_fmac_f32 v84, 0xbf5db3d7, v31 :: v_dual_sub_f32 v65, v69, v68
	v_dual_add_f32 v26, v64, v63 :: v_dual_sub_f32 v81, v81, v85
	v_dual_sub_f32 v63, v64, v63 :: v_dual_add_f32 v62, v70, v84
	v_dual_sub_f32 v64, v66, v83 :: v_dual_add_f32 v69, v16, v86
	v_sub_f32_e32 v66, v70, v84
	v_add_f32_e32 v68, v82, v87
	v_add_f32_e32 v70, v17, v88
	v_dual_sub_f32 v16, v16, v86 :: v_dual_sub_f32 v17, v17, v88
	global_wb scope:SCOPE_SE
	s_barrier_signal -1
	s_barrier_wait -1
	global_inv scope:SCOPE_SE
	v_sub_f32_e32 v82, v82, v87
	ds_store_2addr_b64 v80, v[18:19], v[26:27] offset1:6
	ds_store_2addr_b64 v80, v[61:62], v[20:21] offset0:12 offset1:18
	ds_store_2addr_b64 v80, v[63:64], v[65:66] offset0:24 offset1:30
	ds_store_2addr_b64 v79, v[22:23], v[67:68] offset1:6
	ds_store_2addr_b64 v79, v[69:70], v[24:25] offset0:12 offset1:18
	ds_store_2addr_b64 v79, v[81:82], v[16:17] offset0:24 offset1:30
	global_wb scope:SCOPE_SE
	s_wait_dscnt 0x0
	s_barrier_signal -1
	s_barrier_wait -1
	global_inv scope:SCOPE_SE
	s_clause 0x5
	global_load_b128 v[16:19], v[29:30], off offset:240
	global_load_b64 v[61:62], v[29:30], off offset:256
	global_load_b128 v[20:23], v[29:30], off offset:528
	global_load_b64 v[63:64], v[29:30], off offset:544
	;; [unrolled: 2-line block ×3, first 2 shown]
	ds_load_2addr_b64 v[67:70], v75 offset0:36 offset1:48
	ds_load_2addr_b64 v[81:84], v75 offset0:60 offset1:72
	;; [unrolled: 1-line block ×4, first 2 shown]
	ds_load_b64 v[29:30], v75 offset:1056
	ds_load_b64 v[97:98], v76
	ds_load_2addr_b64 v[93:96], v75 offset0:12 offset1:24
	s_wait_loadcnt_dscnt 0x506
	v_mul_f32_e32 v71, v67, v17
	v_mul_f32_e32 v31, v68, v17
	s_wait_loadcnt_dscnt 0x303
	v_dual_mul_f32 v104, v69, v21 :: v_dual_mul_f32 v105, v90, v23
	v_dual_mul_f32 v99, v84, v19 :: v_dual_mul_f32 v102, v85, v62
	v_mul_f32_e32 v103, v70, v21
	s_wait_loadcnt 0x2
	v_mul_f32_e32 v107, v88, v64
	s_wait_loadcnt 0x1
	v_dual_mul_f32 v108, v87, v64 :: v_dual_mul_f32 v111, v92, v27
	s_wait_loadcnt_dscnt 0x2
	v_dual_mul_f32 v110, v81, v25 :: v_dual_mul_f32 v113, v30, v66
	v_dual_mul_f32 v112, v91, v27 :: v_dual_fmac_f32 v71, v68, v16
	v_fmac_f32_e32 v104, v70, v20
	v_fma_f32 v70, v89, v22, -v105
	v_dual_mul_f32 v100, v83, v19 :: v_dual_mul_f32 v101, v86, v62
	v_dual_mul_f32 v106, v89, v23 :: v_dual_mul_f32 v109, v82, v25
	v_fma_f32 v31, v67, v16, -v31
	v_fma_f32 v67, v83, v18, -v99
	v_fmac_f32_e32 v102, v86, v61
	v_fma_f32 v83, v87, v63, -v107
	s_wait_dscnt 0x0
	v_dual_sub_f32 v87, v93, v70 :: v_dual_fmac_f32 v110, v82, v24
	v_fma_f32 v82, v91, v26, -v111
	v_fmac_f32_e32 v108, v88, v63
	v_fma_f32 v81, v81, v24, -v109
	v_fma_f32 v68, v85, v61, -v101
	v_fma_f32 v69, v69, v20, -v103
	v_sub_f32_e32 v91, v95, v82
	v_fmac_f32_e32 v100, v84, v18
	v_mul_f32_e32 v114, v29, v66
	v_fma_f32 v29, v29, v65, -v113
	v_fma_f32 v99, v93, 2.0, -v87
	v_fma_f32 v101, v95, 2.0, -v91
	v_sub_f32_e32 v85, v98, v100
	v_fmac_f32_e32 v114, v30, v65
	v_sub_f32_e32 v82, v81, v29
	v_dual_sub_f32 v84, v97, v67 :: v_dual_sub_f32 v67, v71, v102
	v_fmac_f32_e32 v106, v90, v22
	v_sub_f32_e32 v70, v104, v108
	s_delay_alu instid0(VALU_DEP_4)
	v_fma_f32 v90, v81, 2.0, -v82
	v_sub_f32_e32 v30, v31, v68
	v_sub_f32_e32 v68, v69, v83
	v_fma_f32 v71, v71, 2.0, -v67
	v_sub_f32_e32 v29, v84, v67
	v_sub_f32_e32 v67, v87, v70
	;; [unrolled: 1-line block ×3, first 2 shown]
	v_fma_f32 v97, v97, 2.0, -v84
	v_fma_f32 v31, v31, 2.0, -v30
	v_fmac_f32_e32 v112, v92, v26
	v_sub_f32_e32 v88, v94, v106
	v_fma_f32 v98, v98, 2.0, -v85
	v_add_f32_e32 v30, v85, v30
	s_delay_alu instid0(VALU_DEP_4) | instskip(NEXT) | instid1(VALU_DEP_4)
	v_dual_sub_f32 v81, v97, v31 :: v_dual_sub_f32 v92, v96, v112
	v_fma_f32 v100, v94, 2.0, -v88
	v_fma_f32 v86, v69, 2.0, -v68
	;; [unrolled: 1-line block ×5, first 2 shown]
	v_add_f32_e32 v70, v92, v82
	v_sub_f32_e32 v82, v98, v71
	v_dual_add_f32 v68, v88, v68 :: v_dual_sub_f32 v69, v91, v83
	v_fma_f32 v83, v84, 2.0, -v29
	v_fma_f32 v84, v85, 2.0, -v30
	v_dual_sub_f32 v85, v99, v86 :: v_dual_sub_f32 v86, v100, v89
	v_dual_sub_f32 v89, v101, v90 :: v_dual_sub_f32 v90, v102, v93
	v_fma_f32 v93, v97, 2.0, -v81
	v_fma_f32 v94, v98, 2.0, -v82
	v_fma_f32 v87, v87, 2.0, -v67
	v_fma_f32 v88, v88, 2.0, -v68
	v_fma_f32 v91, v91, 2.0, -v69
	v_fma_f32 v92, v92, 2.0, -v70
	v_fma_f32 v95, v99, 2.0, -v85
	v_fma_f32 v96, v100, 2.0, -v86
	v_fma_f32 v97, v101, 2.0, -v89
	v_fma_f32 v98, v102, 2.0, -v90
	ds_store_b64 v76, v[93:94]
	ds_store_b64 v75, v[81:82] offset:576
	ds_store_b64 v75, v[29:30] offset:864
	ds_store_2addr_b64 v75, v[83:84], v[87:88] offset0:36 offset1:48
	ds_store_b64 v75, v[67:68] offset:960
	ds_store_2addr_b64 v75, v[95:96], v[97:98] offset0:12 offset1:24
	;; [unrolled: 2-line block ×3, first 2 shown]
	ds_store_b64 v75, v[69:70] offset:1056
	global_wb scope:SCOPE_SE
	s_wait_dscnt 0x0
	s_barrier_signal -1
	s_barrier_wait -1
	global_inv scope:SCOPE_SE
	s_clause 0xb
	global_load_b64 v[29:30], v28, s[8:9] offset:1152
	global_load_b64 v[89:90], v28, s[2:3] offset:192
	;; [unrolled: 1-line block ×12, first 2 shown]
	ds_load_b64 v[67:68], v76
	s_load_b64 s[2:3], s[0:1], 0x38
	s_mul_u64 s[0:1], s[4:5], 0xc0
	s_wait_loadcnt_dscnt 0xb00
	v_mul_f32_e32 v28, v68, v30
	v_mul_f32_e32 v31, v67, v30
	s_delay_alu instid0(VALU_DEP_2) | instskip(NEXT) | instid1(VALU_DEP_2)
	v_fma_f32 v30, v67, v29, -v28
	v_fmac_f32_e32 v31, v68, v29
	ds_store_b64 v76, v[30:31]
	ds_load_2addr_b64 v[28:31], v75 offset0:12 offset1:24
	ds_load_2addr_b64 v[67:70], v75 offset0:36 offset1:48
	;; [unrolled: 1-line block ×4, first 2 shown]
	s_wait_loadcnt_dscnt 0xa03
	v_mul_f32_e32 v71, v31, v90
	v_mul_f32_e32 v112, v30, v90
	s_wait_loadcnt 0x8
	v_mul_f32_e32 v113, v29, v94
	v_mul_f32_e32 v90, v28, v94
	s_wait_loadcnt_dscnt 0x702
	v_mul_f32_e32 v94, v69, v96
	v_fma_f32 v111, v30, v89, -v71
	v_fmac_f32_e32 v112, v31, v89
	v_fma_f32 v89, v28, v93, -v113
	v_fmac_f32_e32 v90, v29, v93
	ds_load_2addr_b64 v[28:31], v75 offset0:108 offset1:120
	v_mul_f32_e32 v71, v70, v96
	v_dual_fmac_f32 v94, v70, v95 :: v_dual_mul_f32 v113, v68, v92
	s_delay_alu instid0(VALU_DEP_2)
	v_fma_f32 v93, v69, v95, -v71
	ds_load_b64 v[95:96], v75 offset:1056
	v_mul_f32_e32 v71, v67, v92
	v_fma_f32 v70, v67, v91, -v113
	s_wait_loadcnt_dscnt 0x603
	v_mul_f32_e32 v67, v84, v98
	s_wait_loadcnt_dscnt 0x502
	v_mul_f32_e32 v69, v88, v100
	s_wait_loadcnt 0x3
	v_dual_mul_f32 v92, v81, v104 :: v_dual_fmac_f32 v71, v68, v91
	v_dual_mul_f32 v68, v83, v98 :: v_dual_mul_f32 v91, v82, v104
	v_fma_f32 v67, v83, v97, -v67
	v_dual_mul_f32 v83, v87, v100 :: v_dual_mul_f32 v100, v85, v102
	s_delay_alu instid0(VALU_DEP_3)
	v_fmac_f32_e32 v68, v84, v97
	s_wait_loadcnt_dscnt 0x201
	v_mul_f32_e32 v84, v31, v106
	v_fma_f32 v91, v81, v103, -v91
	v_mul_f32_e32 v81, v86, v102
	v_fmac_f32_e32 v92, v82, v103
	v_mul_f32_e32 v98, v30, v106
	s_wait_loadcnt 0x0
	v_mul_f32_e32 v102, v29, v110
	v_fma_f32 v82, v87, v99, -v69
	v_mul_f32_e32 v87, v28, v110
	s_wait_dscnt 0x0
	v_mul_f32_e32 v69, v96, v108
	v_fma_f32 v97, v30, v105, -v84
	v_dual_mul_f32 v30, v95, v108 :: v_dual_fmac_f32 v83, v88, v99
	v_fma_f32 v99, v85, v101, -v81
	v_fmac_f32_e32 v100, v86, v101
	v_fmac_f32_e32 v98, v31, v105
	v_fma_f32 v86, v28, v109, -v102
	v_fmac_f32_e32 v87, v29, v109
	v_fma_f32 v29, v95, v107, -v69
	v_fmac_f32_e32 v30, v96, v107
	ds_store_2addr_b64 v75, v[89:90], v[111:112] offset0:12 offset1:24
	ds_store_2addr_b64 v75, v[70:71], v[93:94] offset0:36 offset1:48
	;; [unrolled: 1-line block ×5, first 2 shown]
	ds_store_b64 v75, v[29:30] offset:1056
	global_wb scope:SCOPE_SE
	s_wait_dscnt 0x0
	s_wait_kmcnt 0x0
	s_barrier_signal -1
	s_barrier_wait -1
	global_inv scope:SCOPE_SE
	ds_load_2addr_b64 v[81:84], v75 offset0:36 offset1:48
	ds_load_b64 v[67:68], v76
	ds_load_2addr_b64 v[85:88], v75 offset0:84 offset1:96
	ds_load_2addr_b64 v[28:31], v75 offset0:12 offset1:24
	;; [unrolled: 1-line block ×4, first 2 shown]
	ds_load_b64 v[97:98], v75 offset:1056
	global_wb scope:SCOPE_SE
	s_wait_dscnt 0x0
	s_barrier_signal -1
	s_barrier_wait -1
	global_inv scope:SCOPE_SE
	v_dual_add_f32 v69, v67, v83 :: v_dual_add_f32 v70, v68, v84
	v_dual_add_f32 v99, v83, v87 :: v_dual_sub_f32 v100, v84, v88
	v_dual_add_f32 v84, v84, v88 :: v_dual_sub_f32 v83, v83, v87
	v_sub_f32_e32 v109, v89, v93
	v_sub_f32_e32 v111, v86, v98
	v_dual_add_f32 v87, v69, v87 :: v_dual_add_f32 v88, v70, v88
	v_mad_co_u64_u32 v[69:70], null, s6, v56, 0
	v_add_f32_e32 v101, v30, v91
	v_dual_add_f32 v105, v28, v89 :: v_dual_add_f32 v102, v91, v95
	v_dual_sub_f32 v91, v91, v95 :: v_dual_add_f32 v106, v89, v93
	v_sub_f32_e32 v107, v90, v94
	v_dual_add_f32 v89, v81, v85 :: v_dual_add_f32 v112, v82, v86
	v_add_f32_e32 v86, v86, v98
	v_mad_co_u64_u32 v[70:71], null, s7, v56, v[70:71]
	v_fma_f32 v56, -0.5, v99, v67
	v_add_f32_e32 v67, v101, v95
	v_add_f32_e32 v110, v85, v97
	v_dual_sub_f32 v85, v85, v97 :: v_dual_fmac_f32 v68, -0.5, v84
	v_dual_sub_f32 v103, v92, v96 :: v_dual_add_f32 v108, v29, v90
	v_dual_add_f32 v90, v90, v94 :: v_dual_add_f32 v93, v105, v93
	v_fmac_f32_e32 v82, -0.5, v86
	v_fmamk_f32 v86, v100, 0xbf5db3d7, v56
	v_fmac_f32_e32 v56, 0x3f5db3d7, v100
	v_fmamk_f32 v100, v83, 0x3f5db3d7, v68
	v_fmac_f32_e32 v68, 0xbf5db3d7, v83
	v_add_f32_e32 v83, v87, v67
	v_dual_add_f32 v104, v31, v92 :: v_dual_fmac_f32 v29, -0.5, v90
	v_dual_add_f32 v92, v92, v96 :: v_dual_add_f32 v95, v89, v97
	v_fma_f32 v30, -0.5, v102, v30
	s_delay_alu instid0(VALU_DEP_3) | instskip(SKIP_1) | instid1(VALU_DEP_4)
	v_add_f32_e32 v71, v104, v96
	v_sub_f32_e32 v89, v87, v67
	v_fma_f32 v31, -0.5, v92, v31
	v_fma_f32 v81, -0.5, v110, v81
	v_fmamk_f32 v99, v103, 0xbf5db3d7, v30
	v_sub_f32_e32 v97, v93, v95
	s_mul_i32 s6, s5, 0x180
	v_fmamk_f32 v101, v91, 0x3f5db3d7, v31
	v_fma_f32 v28, -0.5, v106, v28
	v_dual_fmac_f32 v31, 0xbf5db3d7, v91 :: v_dual_add_f32 v94, v108, v94
	v_add_f32_e32 v91, v93, v95
	s_delay_alu instid0(VALU_DEP_4) | instskip(NEXT) | instid1(VALU_DEP_4)
	v_mul_f32_e32 v93, 0xbf5db3d7, v101
	v_dual_fmamk_f32 v67, v107, 0xbf5db3d7, v28 :: v_dual_add_f32 v96, v112, v98
	v_fmamk_f32 v87, v111, 0xbf5db3d7, v81
	v_fmac_f32_e32 v81, 0x3f5db3d7, v111
	v_mul_f32_e32 v95, 0.5, v101
	v_fmac_f32_e32 v93, 0.5, v99
	v_fmac_f32_e32 v30, 0x3f5db3d7, v103
	v_sub_f32_e32 v90, v88, v71
	v_add_f32_e32 v92, v94, v96
	v_sub_f32_e32 v98, v94, v96
	v_mul_f32_e32 v94, 0xbf5db3d7, v31
	v_mul_f32_e32 v31, -0.5, v31
	v_add_f32_e32 v84, v88, v71
	v_dual_fmamk_f32 v88, v85, 0x3f5db3d7, v82 :: v_dual_fmac_f32 v95, 0x3f5db3d7, v99
	v_sub_f32_e32 v99, v86, v93
	v_fmamk_f32 v71, v109, 0x3f5db3d7, v29
	v_fmac_f32_e32 v29, 0xbf5db3d7, v109
	s_delay_alu instid0(VALU_DEP_4) | instskip(SKIP_2) | instid1(VALU_DEP_3)
	v_dual_mul_f32 v103, 0xbf5db3d7, v88 :: v_dual_fmac_f32 v82, 0xbf5db3d7, v85
	v_dual_add_f32 v85, v86, v93 :: v_dual_fmac_f32 v94, -0.5, v30
	v_fmac_f32_e32 v28, 0x3f5db3d7, v107
	v_dual_fmac_f32 v103, 0.5, v87 :: v_dual_mul_f32 v104, 0xbf5db3d7, v82
	v_dual_mul_f32 v106, 0.5, v88 :: v_dual_fmac_f32 v31, 0x3f5db3d7, v30
	v_add_f32_e32 v86, v100, v95
	s_delay_alu instid0(VALU_DEP_3) | instskip(SKIP_1) | instid1(VALU_DEP_4)
	v_dual_add_f32 v93, v67, v103 :: v_dual_fmac_f32 v104, -0.5, v81
	v_sub_f32_e32 v103, v67, v103
	v_dual_fmac_f32 v106, 0x3f5db3d7, v87 :: v_dual_add_f32 v87, v56, v94
	v_mul_f32_e32 v82, -0.5, v82
	v_sub_f32_e32 v100, v100, v95
	v_add_f32_e32 v95, v28, v104
	v_add_f32_e32 v88, v68, v31
	s_delay_alu instid0(VALU_DEP_4) | instskip(SKIP_3) | instid1(VALU_DEP_4)
	v_dual_sub_f32 v101, v56, v94 :: v_dual_fmac_f32 v82, 0x3f5db3d7, v81
	v_sub_f32_e32 v102, v68, v31
	v_dual_add_f32 v94, v71, v106 :: v_dual_sub_f32 v105, v28, v104
	v_sub_f32_e32 v104, v71, v106
	v_add_f32_e32 v96, v29, v82
	v_sub_f32_e32 v106, v29, v82
	ds_store_b128 v78, v[83:86]
	ds_store_b128 v78, v[87:90] offset:16
	ds_store_b128 v78, v[99:102] offset:32
	ds_store_b128 v77, v[91:94]
	ds_store_b128 v77, v[95:98] offset:16
	ds_store_b128 v77, v[103:106] offset:32
	global_wb scope:SCOPE_SE
	s_wait_dscnt 0x0
	s_barrier_signal -1
	s_barrier_wait -1
	global_inv scope:SCOPE_SE
	ds_load_2addr_b64 v[28:31], v75 offset0:12 offset1:24
	ds_load_2addr_b64 v[81:84], v75 offset0:36 offset1:48
	v_mad_co_u64_u32 v[107:108], null, s4, v74, 0
	ds_load_2addr_b64 v[85:88], v75 offset0:60 offset1:72
	ds_load_2addr_b64 v[89:92], v75 offset0:84 offset1:96
	;; [unrolled: 1-line block ×3, first 2 shown]
	s_wait_dscnt 0x3
	v_dual_mov_b32 v56, v108 :: v_dual_mul_f32 v71, v15, v84
	v_mul_f32_e32 v15, v15, v83
	s_delay_alu instid0(VALU_DEP_2)
	v_mad_co_u64_u32 v[67:68], null, s5, v74, v[56:57]
	s_wait_dscnt 0x1
	v_mul_f32_e32 v97, v11, v92
	v_mul_f32_e32 v74, v9, v88
	;; [unrolled: 1-line block ×5, first 2 shown]
	v_dual_fmac_f32 v97, v10, v91 :: v_dual_mov_b32 v108, v67
	v_lshlrev_b64_e32 v[67:68], 3, v[69:70]
	ds_load_b64 v[69:70], v76
	ds_load_b64 v[77:78], v75 offset:1056
	v_dual_mul_f32 v56, v13, v31 :: v_dual_fmac_f32 v99, v4, v81
	v_mul_f32_e32 v13, v13, v30
	v_mul_f32_e32 v5, v5, v81
	;; [unrolled: 1-line block ×5, first 2 shown]
	v_dual_mul_f32 v1, v1, v89 :: v_dual_fmac_f32 v56, v12, v30
	v_fma_f32 v12, v12, v31, -v13
	s_wait_dscnt 0x2
	v_dual_fmac_f32 v71, v14, v83 :: v_dual_mul_f32 v102, v3, v94
	v_mul_f32_e32 v3, v3, v93
	v_fma_f32 v13, v14, v84, -v15
	v_fmac_f32_e32 v74, v8, v87
	v_fma_f32 v8, v8, v88, -v9
	v_fma_f32 v9, v10, v92, -v11
	;; [unrolled: 1-line block ×4, first 2 shown]
	s_wait_dscnt 0x0
	v_dual_mul_f32 v103, v58, v78 :: v_dual_mul_f32 v98, v60, v96
	v_dual_mul_f32 v60, v60, v95 :: v_dual_add_f32 v5, v71, v97
	v_fmac_f32_e32 v101, v0, v89
	v_fmac_f32_e32 v100, v6, v85
	v_fma_f32 v0, v0, v90, -v1
	s_delay_alu instid0(VALU_DEP_4) | instskip(SKIP_3) | instid1(VALU_DEP_4)
	v_fma_f32 v10, v59, v96, -v60
	v_fma_f32 v1, v2, v94, -v3
	v_dual_fmac_f32 v103, v57, v77 :: v_dual_fmac_f32 v98, v59, v95
	v_add_f32_e32 v3, v69, v71
	v_dual_sub_f32 v31, v8, v10 :: v_dual_fmac_f32 v102, v2, v93
	v_sub_f32_e32 v6, v13, v9
	v_add_f32_e32 v7, v70, v13
	v_add_f32_e32 v13, v13, v9
	v_dual_mul_f32 v58, v58, v77 :: v_dual_add_f32 v15, v56, v74
	v_dual_sub_f32 v14, v71, v97 :: v_dual_add_f32 v81, v101, v103
	v_dual_add_f32 v30, v74, v98 :: v_dual_sub_f32 v71, v4, v1
	s_delay_alu instid0(VALU_DEP_3)
	v_fma_f32 v2, v57, v78, -v58
	v_dual_add_f32 v57, v12, v8 :: v_dual_sub_f32 v58, v74, v98
	v_dual_add_f32 v3, v3, v97 :: v_dual_add_f32 v74, v29, v4
	v_add_f32_e32 v4, v4, v1
	v_dual_add_f32 v8, v8, v10 :: v_dual_add_f32 v83, v11, v0
	v_add_f32_e32 v59, v28, v100
	v_add_f32_e32 v60, v100, v102
	v_fma_f32 v69, -0.5, v5, v69
	v_add_f32_e32 v5, v7, v9
	v_dual_add_f32 v9, v57, v10 :: v_dual_add_f32 v78, v99, v101
	v_dual_fmac_f32 v29, -0.5, v4 :: v_dual_sub_f32 v82, v0, v2
	v_dual_add_f32 v0, v0, v2 :: v_dual_fmac_f32 v99, -0.5, v81
	v_dual_sub_f32 v77, v100, v102 :: v_dual_fmac_f32 v70, -0.5, v13
	v_fmac_f32_e32 v56, -0.5, v30
	v_fmac_f32_e32 v12, -0.5, v8
	s_delay_alu instid0(VALU_DEP_4)
	v_dual_sub_f32 v84, v101, v103 :: v_dual_fmac_f32 v11, -0.5, v0
	v_add_f32_e32 v7, v15, v98
	v_add_f32_e32 v15, v83, v2
	v_dual_add_f32 v8, v59, v102 :: v_dual_fmamk_f32 v57, v14, 0x3f5db3d7, v70
	v_dual_add_f32 v10, v74, v1 :: v_dual_fmamk_f32 v59, v77, 0x3f5db3d7, v29
	v_add_f32_e32 v13, v78, v103
	v_fmamk_f32 v30, v6, 0xbf5db3d7, v69
	v_fmac_f32_e32 v69, 0x3f5db3d7, v6
	v_dual_fmac_f32 v70, 0xbf5db3d7, v14 :: v_dual_fmac_f32 v29, 0xbf5db3d7, v77
	v_dual_add_f32 v1, v5, v9 :: v_dual_fmamk_f32 v14, v31, 0xbf5db3d7, v56
	v_fmac_f32_e32 v56, 0x3f5db3d7, v31
	v_dual_fmamk_f32 v31, v58, 0x3f5db3d7, v12 :: v_dual_add_f32 v0, v3, v7
	v_fma_f32 v28, -0.5, v60, v28
	v_fmac_f32_e32 v12, 0xbf5db3d7, v58
	v_fmamk_f32 v60, v84, 0x3f5db3d7, v11
	v_dual_fmac_f32 v11, 0xbf5db3d7, v84 :: v_dual_add_f32 v4, v8, v13
	v_dual_sub_f32 v6, v8, v13 :: v_dual_mul_f32 v13, 0xbf5db3d7, v31
	v_mul_f32_e32 v31, 0.5, v31
	v_dual_sub_f32 v2, v3, v7 :: v_dual_sub_f32 v3, v5, v9
	v_dual_fmamk_f32 v58, v71, 0xbf5db3d7, v28 :: v_dual_add_f32 v5, v10, v15
	v_dual_fmac_f32 v28, 0x3f5db3d7, v71 :: v_dual_mul_f32 v71, -0.5, v12
	v_sub_f32_e32 v7, v10, v15
	v_mul_f32_e32 v15, 0xbf5db3d7, v12
	v_dual_fmamk_f32 v9, v82, 0xbf5db3d7, v99 :: v_dual_mul_f32 v74, 0xbf5db3d7, v60
	v_dual_mul_f32 v77, 0xbf5db3d7, v11 :: v_dual_mul_f32 v60, 0.5, v60
	v_fmac_f32_e32 v13, 0.5, v14
	v_dual_fmac_f32 v99, 0x3f5db3d7, v82 :: v_dual_mul_f32 v78, -0.5, v11
	v_fmac_f32_e32 v15, -0.5, v56
	v_dual_fmac_f32 v31, 0x3f5db3d7, v14 :: v_dual_fmac_f32 v74, 0.5, v9
	v_dual_fmac_f32 v71, 0x3f5db3d7, v56 :: v_dual_fmac_f32 v60, 0x3f5db3d7, v9
	s_delay_alu instid0(VALU_DEP_4) | instskip(SKIP_1) | instid1(VALU_DEP_4)
	v_dual_fmac_f32 v77, -0.5, v99 :: v_dual_add_f32 v8, v30, v13
	v_fmac_f32_e32 v78, 0x3f5db3d7, v99
	v_dual_add_f32 v9, v57, v31 :: v_dual_sub_f32 v12, v30, v13
	v_add_f32_e32 v10, v69, v15
	s_delay_alu instid0(VALU_DEP_4)
	v_dual_add_f32 v11, v70, v71 :: v_dual_add_f32 v56, v28, v77
	v_sub_f32_e32 v14, v69, v15
	v_dual_sub_f32 v13, v57, v31 :: v_dual_add_f32 v30, v58, v74
	v_dual_sub_f32 v15, v70, v71 :: v_dual_sub_f32 v28, v28, v77
	v_add_f32_e32 v31, v59, v60
	v_add_f32_e32 v57, v29, v78
	global_wb scope:SCOPE_SE
	s_barrier_signal -1
	s_barrier_wait -1
	global_inv scope:SCOPE_SE
	v_dual_sub_f32 v58, v58, v74 :: v_dual_sub_f32 v59, v59, v60
	v_sub_f32_e32 v29, v29, v78
	ds_store_2addr_b64 v80, v[0:1], v[8:9] offset1:6
	ds_store_2addr_b64 v80, v[10:11], v[2:3] offset0:12 offset1:18
	ds_store_2addr_b64 v80, v[12:13], v[14:15] offset0:24 offset1:30
	ds_store_2addr_b64 v79, v[4:5], v[30:31] offset1:6
	ds_store_2addr_b64 v79, v[56:57], v[6:7] offset0:12 offset1:18
	ds_store_2addr_b64 v79, v[58:59], v[28:29] offset0:24 offset1:30
	global_wb scope:SCOPE_SE
	s_wait_dscnt 0x0
	s_barrier_signal -1
	s_barrier_wait -1
	global_inv scope:SCOPE_SE
	ds_load_2addr_b64 v[0:3], v75 offset0:36 offset1:48
	ds_load_2addr_b64 v[4:7], v75 offset0:60 offset1:72
	;; [unrolled: 1-line block ×4, first 2 shown]
	v_lshlrev_b64_e32 v[28:29], 3, v[107:108]
	v_add_co_u32 v71, vcc_lo, s2, v67
	s_wait_alu 0xfffd
	v_add_co_ci_u32_e32 v74, vcc_lo, s3, v68, vcc_lo
	ds_load_b64 v[58:59], v76
	ds_load_b64 v[67:68], v75 offset:1056
	v_add_co_u32 v56, vcc_lo, v71, v28
	s_wait_alu 0xfffd
	v_add_co_ci_u32_e32 v57, vcc_lo, v74, v29, vcc_lo
	ds_load_2addr_b64 v[28:31], v75 offset0:12 offset1:24
	s_wait_alu 0xfffe
	v_add_co_u32 v69, vcc_lo, v56, s0
	s_wait_alu 0xfffd
	v_add_co_ci_u32_e32 v70, vcc_lo, s1, v57, vcc_lo
	s_mov_b32 s2, 0x1c71c71c
	s_mov_b32 s3, 0x3f7c71c7
	s_wait_dscnt 0x5
	v_dual_mul_f32 v60, v17, v1 :: v_dual_mul_f32 v77, v19, v7
	v_mul_f32_e32 v17, v17, v0
	s_wait_dscnt 0x4
	v_dual_mul_f32 v19, v19, v6 :: v_dual_mul_f32 v78, v62, v9
	v_dual_mul_f32 v62, v62, v8 :: v_dual_mul_f32 v79, v21, v3
	s_wait_dscnt 0x3
	v_dual_mul_f32 v80, v23, v13 :: v_dual_mul_f32 v21, v21, v2
	s_wait_dscnt 0x1
	v_mul_f32_e32 v84, v66, v68
	v_mul_f32_e32 v23, v23, v12
	v_dual_mul_f32 v81, v64, v11 :: v_dual_mul_f32 v82, v25, v5
	v_dual_mul_f32 v64, v64, v10 :: v_dual_mul_f32 v25, v25, v4
	v_mul_f32_e32 v66, v66, v67
	v_dual_mul_f32 v83, v27, v15 :: v_dual_fmac_f32 v60, v16, v0
	v_dual_mul_f32 v27, v27, v14 :: v_dual_fmac_f32 v78, v61, v8
	v_fma_f32 v0, v16, v1, -v17
	v_dual_fmac_f32 v77, v18, v6 :: v_dual_fmac_f32 v82, v24, v4
	v_fma_f32 v1, v18, v7, -v19
	v_fma_f32 v6, v61, v9, -v62
	v_dual_fmac_f32 v79, v20, v2 :: v_dual_fmac_f32 v80, v22, v12
	v_fma_f32 v2, v20, v3, -v21
	;; [unrolled: 3-line block ×3, first 2 shown]
	v_fma_f32 v4, v24, v5, -v25
	v_dual_fmac_f32 v83, v26, v14 :: v_dual_sub_f32 v10, v59, v1
	v_fma_f32 v5, v26, v15, -v27
	v_fma_f32 v8, v65, v68, -v66
	v_dual_sub_f32 v9, v58, v77 :: v_dual_sub_f32 v6, v0, v6
	s_wait_dscnt 0x0
	v_dual_sub_f32 v1, v60, v78 :: v_dual_sub_f32 v16, v30, v83
	v_dual_sub_f32 v12, v28, v80 :: v_dual_sub_f32 v13, v29, v3
	;; [unrolled: 1-line block ×3, first 2 shown]
	v_sub_f32_e32 v7, v2, v7
	v_fma_f32 v18, v58, 2.0, -v9
	v_fma_f32 v19, v59, 2.0, -v10
	;; [unrolled: 1-line block ×4, first 2 shown]
	v_dual_add_f32 v0, v9, v6 :: v_dual_sub_f32 v17, v31, v5
	v_sub_f32_e32 v1, v10, v1
	v_fma_f32 v20, v28, 2.0, -v12
	v_fma_f32 v15, v79, 2.0, -v3
	v_sub_f32_e32 v5, v82, v84
	v_fma_f32 v21, v29, 2.0, -v13
	v_fma_f32 v22, v2, 2.0, -v7
	v_add_f32_e32 v2, v12, v7
	v_fma_f32 v23, v30, 2.0, -v16
	v_fma_f32 v24, v31, 2.0, -v17
	;; [unrolled: 1-line block ×3, first 2 shown]
	v_add_f32_e32 v4, v16, v8
	v_dual_sub_f32 v6, v18, v11 :: v_dual_sub_f32 v7, v19, v14
	v_fma_f32 v8, v9, 2.0, -v0
	v_fma_f32 v9, v10, 2.0, -v1
	v_sub_f32_e32 v10, v20, v15
	v_fma_f32 v25, v82, 2.0, -v5
	v_sub_f32_e32 v5, v17, v5
	v_sub_f32_e32 v3, v13, v3
	;; [unrolled: 1-line block ×3, first 2 shown]
	s_delay_alu instid0(VALU_DEP_4)
	v_dual_sub_f32 v15, v24, v26 :: v_dual_sub_f32 v14, v23, v25
	v_fma_f32 v18, v18, 2.0, -v6
	v_fma_f32 v19, v19, 2.0, -v7
	;; [unrolled: 1-line block ×10, first 2 shown]
	ds_store_b64 v76, v[18:19]
	ds_store_b64 v75, v[6:7] offset:576
	ds_store_b64 v75, v[0:1] offset:864
	ds_store_2addr_b64 v75, v[8:9], v[12:13] offset0:36 offset1:48
	ds_store_b64 v75, v[2:3] offset:960
	ds_store_2addr_b64 v75, v[20:21], v[22:23] offset0:12 offset1:24
	ds_store_b64 v75, v[16:17] offset:480
	ds_store_2addr_b64 v75, v[10:11], v[14:15] offset0:84 offset1:96
	ds_store_b64 v75, v[4:5] offset:1056
	global_wb scope:SCOPE_SE
	s_wait_dscnt 0x0
	s_barrier_signal -1
	s_barrier_wait -1
	global_inv scope:SCOPE_SE
	ds_load_b64 v[20:21], v76
	ds_load_2addr_b64 v[0:3], v75 offset0:12 offset1:24
	ds_load_2addr_b64 v[4:7], v75 offset0:36 offset1:48
	;; [unrolled: 1-line block ×5, first 2 shown]
	v_mad_co_u64_u32 v[22:23], null, 0x180, s4, v[69:70]
	ds_load_b64 v[28:29], v75 offset:1056
	v_mad_co_u64_u32 v[24:25], null, s4, v72, 0
	s_wait_dscnt 0x6
	v_dual_mul_f32 v30, v33, v21 :: v_dual_add_nc_u32 v23, s6, v23
	s_wait_dscnt 0x3
	v_mul_f32_e32 v64, v49, v9
	s_delay_alu instid0(VALU_DEP_2)
	v_mad_co_u64_u32 v[26:27], null, 0x180, s4, v[22:23]
	v_mul_f32_e32 v58, v35, v7
	v_mul_f32_e32 v59, v51, v11
	s_wait_dscnt 0x2
	v_dual_mul_f32 v35, v35, v6 :: v_dual_mul_f32 v60, v37, v15
	s_wait_dscnt 0x1
	v_dual_mul_f32 v31, v33, v20 :: v_dual_mul_f32 v66, v55, v17
	v_dual_mul_f32 v33, v45, v3 :: v_dual_fmac_f32 v30, v32, v20
	v_dual_mul_f32 v37, v37, v14 :: v_dual_mul_f32 v62, v43, v1
	s_delay_alu instid0(VALU_DEP_3) | instskip(SKIP_2) | instid1(VALU_DEP_4)
	v_dual_fmac_f32 v66, v54, v16 :: v_dual_mul_f32 v45, v45, v2
	v_mul_f32_e32 v63, v41, v5
	v_mul_f32_e32 v41, v41, v4
	v_fmac_f32_e32 v62, v42, v0
	v_mul_f32_e32 v49, v49, v8
	v_mul_f32_e32 v65, v47, v13
	v_dual_mul_f32 v47, v47, v12 :: v_dual_fmac_f32 v58, v34, v6
	v_fmac_f32_e32 v59, v50, v10
	v_dual_mul_f32 v61, v39, v19 :: v_dual_fmac_f32 v60, v36, v14
	v_mul_f32_e32 v55, v55, v16
	v_add_nc_u32_e32 v27, s6, v27
	v_dual_mul_f32 v51, v51, v10 :: v_dual_fmac_f32 v64, v48, v8
	v_fma_f32 v20, v32, v21, -v31
	v_fmac_f32_e32 v33, v44, v2
	v_fma_f32 v21, v44, v3, -v45
	v_fma_f32 v31, v34, v7, -v35
	;; [unrolled: 1-line block ×3, first 2 shown]
	v_fmac_f32_e32 v63, v40, v4
	v_fma_f32 v37, v40, v5, -v41
	v_fma_f32 v40, v48, v9, -v49
	v_fmac_f32_e32 v65, v46, v12
	v_fma_f32 v44, v46, v13, -v47
	v_cvt_f64_f32_e32 v[8:9], v58
	v_cvt_f64_f32_e32 v[12:13], v59
	v_mad_co_u64_u32 v[58:59], null, s5, v72, v[25:26]
	v_mul_f32_e32 v43, v43, v0
	v_fma_f32 v48, v54, v17, -v55
	v_cvt_f64_f32_e32 v[16:17], v60
	v_mad_co_u64_u32 v[59:60], null, 0xfffffca0, s4, v[26:27]
	v_mul_f32_e32 v39, v39, v18
	v_fma_f32 v32, v50, v11, -v51
	s_wait_dscnt 0x0
	v_mul_f32_e32 v67, v53, v29
	v_mul_f32_e32 v53, v53, v28
	v_fmac_f32_e32 v61, v38, v18
	v_fma_f32 v35, v38, v19, -v39
	v_fma_f32 v36, v42, v1, -v43
	v_cvt_f64_f32_e32 v[0:1], v30
	v_cvt_f64_f32_e32 v[2:3], v20
	;; [unrolled: 1-line block ×7, first 2 shown]
	v_fmac_f32_e32 v67, v52, v28
	v_fma_f32 v52, v52, v29, -v53
	v_cvt_f64_f32_e32 v[20:21], v61
	v_cvt_f64_f32_e32 v[28:29], v35
	;; [unrolled: 1-line block ×14, first 2 shown]
	s_wait_alu 0xfffe
	v_mul_f64_e32 v[8:9], s[2:3], v[8:9]
	v_mul_f64_e32 v[12:13], s[2:3], v[12:13]
	v_mad_co_u64_u32 v[54:55], null, s4, v73, 0
	v_mov_b32_e32 v25, v58
	v_mul_f64_e32 v[16:17], s[2:3], v[16:17]
	s_delay_alu instid0(VALU_DEP_2) | instskip(NEXT) | instid1(VALU_DEP_4)
	v_lshlrev_b64_e32 v[24:25], 3, v[24:25]
	v_mad_co_u64_u32 v[61:62], null, s5, v73, v[55:56]
	v_mul_f64_e32 v[0:1], s[2:3], v[0:1]
	v_mul_f64_e32 v[2:3], s[2:3], v[2:3]
	;; [unrolled: 1-line block ×7, first 2 shown]
	v_mov_b32_e32 v55, v61
	v_add_co_u32 v61, vcc_lo, v59, s0
	v_mul_f64_e32 v[20:21], s[2:3], v[20:21]
	v_mul_f64_e32 v[28:29], s[2:3], v[28:29]
	;; [unrolled: 1-line block ×14, first 2 shown]
	s_mul_i32 s2, s5, 0xfffffca0
	s_wait_alu 0xfffe
	s_sub_co_i32 s2, s2, s4
	s_wait_alu 0xfffe
	v_add_nc_u32_e32 v60, s2, v60
	s_wait_alu 0xfffd
	s_delay_alu instid0(VALU_DEP_1)
	v_add_co_ci_u32_e32 v62, vcc_lo, s1, v60, vcc_lo
	v_cvt_f32_f64_e32 v0, v[0:1]
	v_cvt_f32_f64_e32 v1, v[2:3]
	;; [unrolled: 1-line block ×24, first 2 shown]
	v_add_co_u32 v30, vcc_lo, v61, s0
	s_wait_alu 0xfffd
	v_add_co_ci_u32_e32 v31, vcc_lo, s1, v62, vcc_lo
	v_lshlrev_b64_e32 v[32:33], 3, v[54:55]
	s_delay_alu instid0(VALU_DEP_3) | instskip(SKIP_1) | instid1(VALU_DEP_3)
	v_add_co_u32 v34, vcc_lo, v30, s0
	s_wait_alu 0xfffd
	v_add_co_ci_u32_e32 v35, vcc_lo, s1, v31, vcc_lo
	v_add_co_u32 v24, vcc_lo, v71, v24
	s_wait_alu 0xfffd
	v_add_co_ci_u32_e32 v25, vcc_lo, v74, v25, vcc_lo
	;; [unrolled: 3-line block ×5, first 2 shown]
	s_clause 0x6
	global_store_b64 v[56:57], v[0:1], off
	global_store_b64 v[69:70], v[2:3], off
	global_store_b64 v[24:25], v[4:5], off
	global_store_b64 v[22:23], v[6:7], off
	global_store_b64 v[32:33], v[8:9], off
	global_store_b64 v[26:27], v[10:11], off
	global_store_b64 v[59:60], v[12:13], off
	global_store_b64 v[61:62], v[14:15], off
	global_store_b64 v[30:31], v[16:17], off
	global_store_b64 v[34:35], v[18:19], off
	global_store_b64 v[36:37], v[20:21], off
	global_store_b64 v[38:39], v[28:29], off
.LBB0_2:
	s_nop 0
	s_sendmsg sendmsg(MSG_DEALLOC_VGPRS)
	s_endpgm
	.section	.rodata,"a",@progbits
	.p2align	6, 0x0
	.amdhsa_kernel bluestein_single_back_len144_dim1_sp_op_CI_CI
		.amdhsa_group_segment_fixed_size 11520
		.amdhsa_private_segment_fixed_size 0
		.amdhsa_kernarg_size 104
		.amdhsa_user_sgpr_count 2
		.amdhsa_user_sgpr_dispatch_ptr 0
		.amdhsa_user_sgpr_queue_ptr 0
		.amdhsa_user_sgpr_kernarg_segment_ptr 1
		.amdhsa_user_sgpr_dispatch_id 0
		.amdhsa_user_sgpr_private_segment_size 0
		.amdhsa_wavefront_size32 1
		.amdhsa_uses_dynamic_stack 0
		.amdhsa_enable_private_segment 0
		.amdhsa_system_sgpr_workgroup_id_x 1
		.amdhsa_system_sgpr_workgroup_id_y 0
		.amdhsa_system_sgpr_workgroup_id_z 0
		.amdhsa_system_sgpr_workgroup_info 0
		.amdhsa_system_vgpr_workitem_id 0
		.amdhsa_next_free_vgpr 115
		.amdhsa_next_free_sgpr 20
		.amdhsa_reserve_vcc 1
		.amdhsa_float_round_mode_32 0
		.amdhsa_float_round_mode_16_64 0
		.amdhsa_float_denorm_mode_32 3
		.amdhsa_float_denorm_mode_16_64 3
		.amdhsa_fp16_overflow 0
		.amdhsa_workgroup_processor_mode 1
		.amdhsa_memory_ordered 1
		.amdhsa_forward_progress 0
		.amdhsa_round_robin_scheduling 0
		.amdhsa_exception_fp_ieee_invalid_op 0
		.amdhsa_exception_fp_denorm_src 0
		.amdhsa_exception_fp_ieee_div_zero 0
		.amdhsa_exception_fp_ieee_overflow 0
		.amdhsa_exception_fp_ieee_underflow 0
		.amdhsa_exception_fp_ieee_inexact 0
		.amdhsa_exception_int_div_zero 0
	.end_amdhsa_kernel
	.text
.Lfunc_end0:
	.size	bluestein_single_back_len144_dim1_sp_op_CI_CI, .Lfunc_end0-bluestein_single_back_len144_dim1_sp_op_CI_CI
                                        ; -- End function
	.section	.AMDGPU.csdata,"",@progbits
; Kernel info:
; codeLenInByte = 7884
; NumSgprs: 22
; NumVgprs: 115
; ScratchSize: 0
; MemoryBound: 0
; FloatMode: 240
; IeeeMode: 1
; LDSByteSize: 11520 bytes/workgroup (compile time only)
; SGPRBlocks: 2
; VGPRBlocks: 14
; NumSGPRsForWavesPerEU: 22
; NumVGPRsForWavesPerEU: 115
; Occupancy: 11
; WaveLimiterHint : 1
; COMPUTE_PGM_RSRC2:SCRATCH_EN: 0
; COMPUTE_PGM_RSRC2:USER_SGPR: 2
; COMPUTE_PGM_RSRC2:TRAP_HANDLER: 0
; COMPUTE_PGM_RSRC2:TGID_X_EN: 1
; COMPUTE_PGM_RSRC2:TGID_Y_EN: 0
; COMPUTE_PGM_RSRC2:TGID_Z_EN: 0
; COMPUTE_PGM_RSRC2:TIDIG_COMP_CNT: 0
	.text
	.p2alignl 7, 3214868480
	.fill 96, 4, 3214868480
	.type	__hip_cuid_fd60bf92b7f7559e,@object ; @__hip_cuid_fd60bf92b7f7559e
	.section	.bss,"aw",@nobits
	.globl	__hip_cuid_fd60bf92b7f7559e
__hip_cuid_fd60bf92b7f7559e:
	.byte	0                               ; 0x0
	.size	__hip_cuid_fd60bf92b7f7559e, 1

	.ident	"AMD clang version 19.0.0git (https://github.com/RadeonOpenCompute/llvm-project roc-6.4.0 25133 c7fe45cf4b819c5991fe208aaa96edf142730f1d)"
	.section	".note.GNU-stack","",@progbits
	.addrsig
	.addrsig_sym __hip_cuid_fd60bf92b7f7559e
	.amdgpu_metadata
---
amdhsa.kernels:
  - .args:
      - .actual_access:  read_only
        .address_space:  global
        .offset:         0
        .size:           8
        .value_kind:     global_buffer
      - .actual_access:  read_only
        .address_space:  global
        .offset:         8
        .size:           8
        .value_kind:     global_buffer
      - .actual_access:  read_only
        .address_space:  global
        .offset:         16
        .size:           8
        .value_kind:     global_buffer
      - .actual_access:  read_only
        .address_space:  global
        .offset:         24
        .size:           8
        .value_kind:     global_buffer
      - .actual_access:  read_only
        .address_space:  global
        .offset:         32
        .size:           8
        .value_kind:     global_buffer
      - .offset:         40
        .size:           8
        .value_kind:     by_value
      - .address_space:  global
        .offset:         48
        .size:           8
        .value_kind:     global_buffer
      - .address_space:  global
        .offset:         56
        .size:           8
        .value_kind:     global_buffer
      - .address_space:  global
        .offset:         64
        .size:           8
        .value_kind:     global_buffer
      - .address_space:  global
        .offset:         72
        .size:           8
        .value_kind:     global_buffer
      - .offset:         80
        .size:           4
        .value_kind:     by_value
      - .address_space:  global
        .offset:         88
        .size:           8
        .value_kind:     global_buffer
      - .address_space:  global
        .offset:         96
        .size:           8
        .value_kind:     global_buffer
    .group_segment_fixed_size: 11520
    .kernarg_segment_align: 8
    .kernarg_segment_size: 104
    .language:       OpenCL C
    .language_version:
      - 2
      - 0
    .max_flat_workgroup_size: 120
    .name:           bluestein_single_back_len144_dim1_sp_op_CI_CI
    .private_segment_fixed_size: 0
    .sgpr_count:     22
    .sgpr_spill_count: 0
    .symbol:         bluestein_single_back_len144_dim1_sp_op_CI_CI.kd
    .uniform_work_group_size: 1
    .uses_dynamic_stack: false
    .vgpr_count:     115
    .vgpr_spill_count: 0
    .wavefront_size: 32
    .workgroup_processor_mode: 1
amdhsa.target:   amdgcn-amd-amdhsa--gfx1201
amdhsa.version:
  - 1
  - 2
...

	.end_amdgpu_metadata
